;; amdgpu-corpus repo=ROCm/AMDMIGraphX kind=compiled arch=gfx906 opt=O3
	.text
	.amdgcn_target "amdgcn-amd-amdhsa--gfx906"
	.amdhsa_code_object_version 6
	.protected	max_pooling_f32         ; -- Begin function max_pooling_f32
	.globl	max_pooling_f32
	.p2align	8
	.type	max_pooling_f32,@function
max_pooling_f32:                        ; @max_pooling_f32
; %bb.0:
	s_load_dword s0, s[4:5], 0x1c
	s_waitcnt lgkmcnt(0)
	s_and_b32 s0, s0, 0xffff
	s_mul_i32 s6, s6, s0
	v_add_u32_e32 v3, s6, v0
	s_movk_i32 s0, 0x120
	v_cmp_gt_u32_e32 vcc, s0, v3
	s_and_saveexec_b64 s[0:1], vcc
	s_cbranch_execz .LBB0_18
; %bb.1:
	s_load_dwordx4 s[0:3], s[4:5], 0x0
	s_mov_b32 s4, 0xaaab
	v_mul_u32_u24_sdwa v0, v3, s4 dst_sel:DWORD dst_unused:UNUSED_PAD src0_sel:WORD_0 src1_sel:DWORD
	v_lshrrev_b32_e32 v1, 18, v0
	s_movk_i32 s4, 0xab
	v_mul_lo_u16_sdwa v2, v1, s4 dst_sel:DWORD dst_unused:UNUSED_PAD src0_sel:BYTE_0 src1_sel:DWORD
	v_lshrrev_b16_e32 v2, 10, v2
	v_mul_lo_u16_e32 v2, 6, v2
	s_mov_b32 s4, 0xe38f
	v_mul_lo_u16_e32 v0, 6, v1
	v_sub_u16_e32 v1, v1, v2
	v_mul_u32_u24_sdwa v2, v3, s4 dst_sel:DWORD dst_unused:UNUSED_PAD src0_sel:WORD_0 src1_sel:DWORD
	s_movk_i32 s4, 0x8f
	v_cmp_lt_u32_e32 vcc, s4, v3
	v_sub_u16_e32 v0, v3, v0
	v_cndmask_b32_e64 v3, 0, 1, vcc
	v_and_b32_e32 v1, 0xff, v1
	v_bfe_u32 v2, v2, 21, 2
	v_lshlrev_b32_e32 v4, 8, v3
	v_lshlrev_b32_e32 v7, 3, v1
	v_lshl_or_b32 v9, v2, 6, v4
	v_or3_b32 v4, v9, v7, v0
	v_lshlrev_b32_e32 v4, 2, v4
	s_waitcnt lgkmcnt(0)
	global_load_dword v4, v4, s[0:1]
	v_add_u32_e32 v8, 1, v0
	v_cmp_gt_u32_e32 vcc, 8, v8
	v_mov_b32_e32 v5, 0xff7fffff
	v_mov_b32_e32 v6, 0xff7fffff
	s_and_saveexec_b64 s[4:5], vcc
	s_cbranch_execz .LBB0_3
; %bb.2:
	v_or3_b32 v6, v9, v7, v8
	v_lshlrev_b32_e32 v6, 2, v6
	global_load_dword v6, v6, s[0:1]
.LBB0_3:
	s_or_b64 exec, exec, s[4:5]
	v_add_u32_e32 v8, 2, v0
	v_cmp_gt_u32_e32 vcc, 8, v8
	s_and_saveexec_b64 s[4:5], vcc
	s_cbranch_execz .LBB0_5
; %bb.4:
	v_or3_b32 v5, v9, v7, v8
	v_lshlrev_b32_e32 v5, 2, v5
	global_load_dword v5, v5, s[0:1]
.LBB0_5:
	s_or_b64 exec, exec, s[4:5]
	v_add_u32_e32 v10, 1, v1
	v_cmp_gt_u32_e32 vcc, 8, v10
	v_mov_b32_e32 v8, 0xff7fffff
	v_mov_b32_e32 v7, 0xff7fffff
	s_and_saveexec_b64 s[4:5], vcc
	s_cbranch_execz .LBB0_7
; %bb.6:
	v_lshlrev_b32_e32 v7, 3, v10
	v_or3_b32 v7, v9, v7, v0
	v_lshlrev_b32_e32 v7, 2, v7
	global_load_dword v7, v7, s[0:1]
.LBB0_7:
	s_or_b64 exec, exec, s[4:5]
	v_add_u32_e32 v12, 1, v0
	v_add_u32_e32 v14, 1, v1
	v_max_u32_e32 v10, v14, v12
	v_cmp_gt_u32_e32 vcc, 8, v10
	s_and_saveexec_b64 s[4:5], vcc
	s_cbranch_execz .LBB0_9
; %bb.8:
	v_lshlrev_b32_e32 v10, 8, v3
	v_lshlrev_b32_e32 v8, 3, v14
	v_lshl_or_b32 v10, v2, 6, v10
	v_or3_b32 v10, v10, v8, v12
	v_mov_b32_e32 v11, 0
	v_lshlrev_b64 v[10:11], 2, v[10:11]
	v_mov_b32_e32 v8, s1
	v_add_co_u32_e32 v10, vcc, s0, v10
	v_addc_co_u32_e32 v11, vcc, v8, v11, vcc
	global_load_dword v8, v[10:11], off
.LBB0_9:
	s_or_b64 exec, exec, s[4:5]
	v_add_u32_e32 v13, 2, v0
	v_max_u32_e32 v10, v14, v13
	v_cmp_gt_u32_e32 vcc, 8, v10
	v_mov_b32_e32 v10, 0xff7fffff
	v_mov_b32_e32 v11, 0xff7fffff
	s_and_saveexec_b64 s[4:5], vcc
	s_cbranch_execz .LBB0_11
; %bb.10:
	v_lshlrev_b32_e32 v11, 3, v14
	v_lshlrev_b32_e32 v14, 8, v3
	v_lshl_or_b32 v14, v2, 6, v14
	v_or3_b32 v14, v14, v11, v13
	v_mov_b32_e32 v15, 0
	v_lshlrev_b64 v[14:15], 2, v[14:15]
	v_mov_b32_e32 v11, s1
	v_add_co_u32_e32 v14, vcc, s0, v14
	v_addc_co_u32_e32 v15, vcc, v11, v15, vcc
	global_load_dword v11, v[14:15], off
.LBB0_11:
	s_or_b64 exec, exec, s[4:5]
	v_add_u32_e32 v14, 2, v1
	v_cmp_gt_u32_e32 vcc, 8, v14
	s_and_saveexec_b64 s[4:5], vcc
	s_cbranch_execz .LBB0_13
; %bb.12:
	v_lshlrev_b32_e32 v10, 3, v14
	v_or3_b32 v9, v9, v10, v0
	v_lshlrev_b32_e32 v9, 2, v9
	global_load_dword v10, v9, s[0:1]
.LBB0_13:
	s_or_b64 exec, exec, s[4:5]
	v_add_u32_e32 v15, 2, v1
	v_max_u32_e32 v9, v15, v12
	v_cmp_gt_u32_e32 vcc, 8, v9
	v_mov_b32_e32 v9, 0xff7fffff
	v_mov_b32_e32 v14, 0xff7fffff
	s_and_saveexec_b64 s[4:5], vcc
	s_cbranch_execz .LBB0_15
; %bb.14:
	v_lshlrev_b32_e32 v16, 8, v3
	v_lshlrev_b32_e32 v14, 3, v15
	v_lshl_or_b32 v16, v2, 6, v16
	v_or3_b32 v16, v16, v14, v12
	v_mov_b32_e32 v17, 0
	v_lshlrev_b64 v[16:17], 2, v[16:17]
	v_mov_b32_e32 v12, s1
	v_add_co_u32_e32 v16, vcc, s0, v16
	v_addc_co_u32_e32 v17, vcc, v12, v17, vcc
	global_load_dword v14, v[16:17], off
.LBB0_15:
	s_or_b64 exec, exec, s[4:5]
	v_max_u32_e32 v12, v15, v13
	v_cmp_gt_u32_e32 vcc, 8, v12
	s_and_saveexec_b64 s[4:5], vcc
	s_cbranch_execz .LBB0_17
; %bb.16:
	v_lshlrev_b32_e32 v12, 8, v3
	v_lshlrev_b32_e32 v9, 3, v15
	v_lshl_or_b32 v12, v2, 6, v12
	v_or3_b32 v12, v12, v9, v13
	v_mov_b32_e32 v13, 0
	v_lshlrev_b64 v[12:13], 2, v[12:13]
	v_mov_b32_e32 v9, s1
	v_add_co_u32_e32 v12, vcc, s0, v12
	v_addc_co_u32_e32 v13, vcc, v9, v13, vcc
	global_load_dword v9, v[12:13], off
.LBB0_17:
	s_or_b64 exec, exec, s[4:5]
	s_waitcnt vmcnt(0)
	v_max_f32_e32 v4, v4, v4
	v_max_f32_e32 v4, 0xff7fffff, v4
	v_max3_f32 v4, v4, v6, v5
	v_max3_f32 v4, v4, v7, v8
	v_mul_u32_u24_e32 v3, 0x90, v3
	v_mul_u32_u24_e32 v2, 36, v2
	v_mul_u32_u24_e32 v1, 6, v1
	v_max3_f32 v4, v4, v11, v10
	v_mul_u32_u24_e32 v0, 1, v0
	v_add3_u32 v1, v2, v3, v1
	v_max3_f32 v4, v4, v14, v9
	v_add_lshl_u32 v0, v1, v0, 2
	global_store_dword v0, v4, s[2:3]
.LBB0_18:
	s_endpgm
	.section	.rodata,"a",@progbits
	.p2align	6, 0x0
	.amdhsa_kernel max_pooling_f32
		.amdhsa_group_segment_fixed_size 0
		.amdhsa_private_segment_fixed_size 0
		.amdhsa_kernarg_size 272
		.amdhsa_user_sgpr_count 6
		.amdhsa_user_sgpr_private_segment_buffer 1
		.amdhsa_user_sgpr_dispatch_ptr 0
		.amdhsa_user_sgpr_queue_ptr 0
		.amdhsa_user_sgpr_kernarg_segment_ptr 1
		.amdhsa_user_sgpr_dispatch_id 0
		.amdhsa_user_sgpr_flat_scratch_init 0
		.amdhsa_user_sgpr_private_segment_size 0
		.amdhsa_uses_dynamic_stack 0
		.amdhsa_system_sgpr_private_segment_wavefront_offset 0
		.amdhsa_system_sgpr_workgroup_id_x 1
		.amdhsa_system_sgpr_workgroup_id_y 0
		.amdhsa_system_sgpr_workgroup_id_z 0
		.amdhsa_system_sgpr_workgroup_info 0
		.amdhsa_system_vgpr_workitem_id 0
		.amdhsa_next_free_vgpr 18
		.amdhsa_next_free_sgpr 7
		.amdhsa_reserve_vcc 1
		.amdhsa_reserve_flat_scratch 0
		.amdhsa_float_round_mode_32 0
		.amdhsa_float_round_mode_16_64 0
		.amdhsa_float_denorm_mode_32 3
		.amdhsa_float_denorm_mode_16_64 3
		.amdhsa_dx10_clamp 1
		.amdhsa_ieee_mode 1
		.amdhsa_fp16_overflow 0
		.amdhsa_exception_fp_ieee_invalid_op 0
		.amdhsa_exception_fp_denorm_src 0
		.amdhsa_exception_fp_ieee_div_zero 0
		.amdhsa_exception_fp_ieee_overflow 0
		.amdhsa_exception_fp_ieee_underflow 0
		.amdhsa_exception_fp_ieee_inexact 0
		.amdhsa_exception_int_div_zero 0
	.end_amdhsa_kernel
	.text
.Lfunc_end0:
	.size	max_pooling_f32, .Lfunc_end0-max_pooling_f32
                                        ; -- End function
	.section	.AMDGPU.csdata,"",@progbits
; Kernel info:
; codeLenInByte = 840
; NumSgprs: 11
; NumVgprs: 18
; ScratchSize: 0
; MemoryBound: 0
; FloatMode: 240
; IeeeMode: 1
; LDSByteSize: 0 bytes/workgroup (compile time only)
; SGPRBlocks: 1
; VGPRBlocks: 4
; NumSGPRsForWavesPerEU: 11
; NumVGPRsForWavesPerEU: 18
; Occupancy: 8
; WaveLimiterHint : 0
; COMPUTE_PGM_RSRC2:SCRATCH_EN: 0
; COMPUTE_PGM_RSRC2:USER_SGPR: 6
; COMPUTE_PGM_RSRC2:TRAP_HANDLER: 0
; COMPUTE_PGM_RSRC2:TGID_X_EN: 1
; COMPUTE_PGM_RSRC2:TGID_Y_EN: 0
; COMPUTE_PGM_RSRC2:TGID_Z_EN: 0
; COMPUTE_PGM_RSRC2:TIDIG_COMP_CNT: 0
	.type	__hip_cuid_984e7e017b891a4a,@object ; @__hip_cuid_984e7e017b891a4a
	.section	.bss,"aw",@nobits
	.globl	__hip_cuid_984e7e017b891a4a
__hip_cuid_984e7e017b891a4a:
	.byte	0                               ; 0x0
	.size	__hip_cuid_984e7e017b891a4a, 1

	.ident	"AMD clang version 19.0.0git (https://github.com/RadeonOpenCompute/llvm-project roc-6.4.0 25133 c7fe45cf4b819c5991fe208aaa96edf142730f1d)"
	.section	".note.GNU-stack","",@progbits
	.addrsig
	.addrsig_sym __hip_cuid_984e7e017b891a4a
	.amdgpu_metadata
---
amdhsa.kernels:
  - .args:
      - .address_space:  global
        .offset:         0
        .size:           8
        .value_kind:     global_buffer
      - .address_space:  global
        .offset:         8
        .size:           8
        .value_kind:     global_buffer
      - .offset:         16
        .size:           4
        .value_kind:     hidden_block_count_x
      - .offset:         20
        .size:           4
        .value_kind:     hidden_block_count_y
      - .offset:         24
        .size:           4
        .value_kind:     hidden_block_count_z
      - .offset:         28
        .size:           2
        .value_kind:     hidden_group_size_x
      - .offset:         30
        .size:           2
        .value_kind:     hidden_group_size_y
      - .offset:         32
        .size:           2
        .value_kind:     hidden_group_size_z
      - .offset:         34
        .size:           2
        .value_kind:     hidden_remainder_x
      - .offset:         36
        .size:           2
        .value_kind:     hidden_remainder_y
      - .offset:         38
        .size:           2
        .value_kind:     hidden_remainder_z
      - .offset:         56
        .size:           8
        .value_kind:     hidden_global_offset_x
      - .offset:         64
        .size:           8
        .value_kind:     hidden_global_offset_y
      - .offset:         72
        .size:           8
        .value_kind:     hidden_global_offset_z
      - .offset:         80
        .size:           2
        .value_kind:     hidden_grid_dims
    .group_segment_fixed_size: 0
    .kernarg_segment_align: 8
    .kernarg_segment_size: 272
    .language:       OpenCL C
    .language_version:
      - 2
      - 0
    .max_flat_workgroup_size: 1024
    .name:           max_pooling_f32
    .private_segment_fixed_size: 0
    .sgpr_count:     11
    .sgpr_spill_count: 0
    .symbol:         max_pooling_f32.kd
    .uniform_work_group_size: 1
    .uses_dynamic_stack: false
    .vgpr_count:     18
    .vgpr_spill_count: 0
    .wavefront_size: 64
amdhsa.target:   amdgcn-amd-amdhsa--gfx906
amdhsa.version:
  - 1
  - 2
...

	.end_amdgpu_metadata
